;; amdgpu-corpus repo=ROCm/rocFFT kind=compiled arch=gfx1201 opt=O3
	.text
	.amdgcn_target "amdgcn-amd-amdhsa--gfx1201"
	.amdhsa_code_object_version 6
	.protected	fft_rtc_back_len2592_factors_6_6_6_6_2_wgs_216_tpt_216_halfLds_dp_ip_CI_unitstride_sbrr_R2C_dirReg ; -- Begin function fft_rtc_back_len2592_factors_6_6_6_6_2_wgs_216_tpt_216_halfLds_dp_ip_CI_unitstride_sbrr_R2C_dirReg
	.globl	fft_rtc_back_len2592_factors_6_6_6_6_2_wgs_216_tpt_216_halfLds_dp_ip_CI_unitstride_sbrr_R2C_dirReg
	.p2align	8
	.type	fft_rtc_back_len2592_factors_6_6_6_6_2_wgs_216_tpt_216_halfLds_dp_ip_CI_unitstride_sbrr_R2C_dirReg,@function
fft_rtc_back_len2592_factors_6_6_6_6_2_wgs_216_tpt_216_halfLds_dp_ip_CI_unitstride_sbrr_R2C_dirReg: ; @fft_rtc_back_len2592_factors_6_6_6_6_2_wgs_216_tpt_216_halfLds_dp_ip_CI_unitstride_sbrr_R2C_dirReg
; %bb.0:
	s_clause 0x2
	s_load_b128 s[4:7], s[0:1], 0x0
	s_load_b64 s[8:9], s[0:1], 0x50
	s_load_b64 s[10:11], s[0:1], 0x18
	v_mul_u32_u24_e32 v1, 0x130, v0
	v_mov_b32_e32 v3, 0
	s_delay_alu instid0(VALU_DEP_2) | instskip(NEXT) | instid1(VALU_DEP_1)
	v_lshrrev_b32_e32 v1, 16, v1
	v_add_nc_u32_e32 v5, ttmp9, v1
	v_mov_b32_e32 v1, 0
	v_mov_b32_e32 v2, 0
	;; [unrolled: 1-line block ×3, first 2 shown]
	s_wait_kmcnt 0x0
	v_cmp_lt_u64_e64 s2, s[6:7], 2
	s_delay_alu instid0(VALU_DEP_1)
	s_and_b32 vcc_lo, exec_lo, s2
	s_cbranch_vccnz .LBB0_8
; %bb.1:
	s_load_b64 s[2:3], s[0:1], 0x10
	v_mov_b32_e32 v1, 0
	v_mov_b32_e32 v2, 0
	s_add_nc_u64 s[12:13], s[10:11], 8
	s_mov_b64 s[14:15], 1
	s_wait_kmcnt 0x0
	s_add_nc_u64 s[16:17], s[2:3], 8
	s_mov_b32 s3, 0
.LBB0_2:                                ; =>This Inner Loop Header: Depth=1
	s_load_b64 s[18:19], s[16:17], 0x0
                                        ; implicit-def: $vgpr9_vgpr10
	s_mov_b32 s2, exec_lo
	s_wait_kmcnt 0x0
	v_or_b32_e32 v4, s19, v6
	s_delay_alu instid0(VALU_DEP_1)
	v_cmpx_ne_u64_e32 0, v[3:4]
	s_wait_alu 0xfffe
	s_xor_b32 s20, exec_lo, s2
	s_cbranch_execz .LBB0_4
; %bb.3:                                ;   in Loop: Header=BB0_2 Depth=1
	s_cvt_f32_u32 s2, s18
	s_cvt_f32_u32 s21, s19
	s_sub_nc_u64 s[24:25], 0, s[18:19]
	s_wait_alu 0xfffe
	s_delay_alu instid0(SALU_CYCLE_1) | instskip(SKIP_1) | instid1(SALU_CYCLE_2)
	s_fmamk_f32 s2, s21, 0x4f800000, s2
	s_wait_alu 0xfffe
	v_s_rcp_f32 s2, s2
	s_delay_alu instid0(TRANS32_DEP_1) | instskip(SKIP_1) | instid1(SALU_CYCLE_2)
	s_mul_f32 s2, s2, 0x5f7ffffc
	s_wait_alu 0xfffe
	s_mul_f32 s21, s2, 0x2f800000
	s_wait_alu 0xfffe
	s_delay_alu instid0(SALU_CYCLE_2) | instskip(SKIP_1) | instid1(SALU_CYCLE_2)
	s_trunc_f32 s21, s21
	s_wait_alu 0xfffe
	s_fmamk_f32 s2, s21, 0xcf800000, s2
	s_cvt_u32_f32 s23, s21
	s_wait_alu 0xfffe
	s_delay_alu instid0(SALU_CYCLE_1) | instskip(SKIP_1) | instid1(SALU_CYCLE_2)
	s_cvt_u32_f32 s22, s2
	s_wait_alu 0xfffe
	s_mul_u64 s[26:27], s[24:25], s[22:23]
	s_wait_alu 0xfffe
	s_mul_hi_u32 s29, s22, s27
	s_mul_i32 s28, s22, s27
	s_mul_hi_u32 s2, s22, s26
	s_mul_i32 s30, s23, s26
	s_wait_alu 0xfffe
	s_add_nc_u64 s[28:29], s[2:3], s[28:29]
	s_mul_hi_u32 s21, s23, s26
	s_mul_hi_u32 s31, s23, s27
	s_add_co_u32 s2, s28, s30
	s_wait_alu 0xfffe
	s_add_co_ci_u32 s2, s29, s21
	s_mul_i32 s26, s23, s27
	s_add_co_ci_u32 s27, s31, 0
	s_wait_alu 0xfffe
	s_add_nc_u64 s[26:27], s[2:3], s[26:27]
	s_wait_alu 0xfffe
	v_add_co_u32 v4, s2, s22, s26
	s_delay_alu instid0(VALU_DEP_1) | instskip(SKIP_1) | instid1(VALU_DEP_1)
	s_cmp_lg_u32 s2, 0
	s_add_co_ci_u32 s23, s23, s27
	v_readfirstlane_b32 s22, v4
	s_wait_alu 0xfffe
	s_delay_alu instid0(VALU_DEP_1)
	s_mul_u64 s[24:25], s[24:25], s[22:23]
	s_wait_alu 0xfffe
	s_mul_hi_u32 s27, s22, s25
	s_mul_i32 s26, s22, s25
	s_mul_hi_u32 s2, s22, s24
	s_mul_i32 s28, s23, s24
	s_wait_alu 0xfffe
	s_add_nc_u64 s[26:27], s[2:3], s[26:27]
	s_mul_hi_u32 s21, s23, s24
	s_mul_hi_u32 s22, s23, s25
	s_wait_alu 0xfffe
	s_add_co_u32 s2, s26, s28
	s_add_co_ci_u32 s2, s27, s21
	s_mul_i32 s24, s23, s25
	s_add_co_ci_u32 s25, s22, 0
	s_wait_alu 0xfffe
	s_add_nc_u64 s[24:25], s[2:3], s[24:25]
	s_wait_alu 0xfffe
	v_add_co_u32 v4, s2, v4, s24
	s_delay_alu instid0(VALU_DEP_1) | instskip(SKIP_1) | instid1(VALU_DEP_1)
	s_cmp_lg_u32 s2, 0
	s_add_co_ci_u32 s2, s23, s25
	v_mul_hi_u32 v13, v5, v4
	s_wait_alu 0xfffe
	v_mad_co_u64_u32 v[7:8], null, v5, s2, 0
	v_mad_co_u64_u32 v[9:10], null, v6, v4, 0
	;; [unrolled: 1-line block ×3, first 2 shown]
	s_delay_alu instid0(VALU_DEP_3) | instskip(SKIP_1) | instid1(VALU_DEP_4)
	v_add_co_u32 v4, vcc_lo, v13, v7
	s_wait_alu 0xfffd
	v_add_co_ci_u32_e32 v7, vcc_lo, 0, v8, vcc_lo
	s_delay_alu instid0(VALU_DEP_2) | instskip(SKIP_1) | instid1(VALU_DEP_2)
	v_add_co_u32 v4, vcc_lo, v4, v9
	s_wait_alu 0xfffd
	v_add_co_ci_u32_e32 v4, vcc_lo, v7, v10, vcc_lo
	s_wait_alu 0xfffd
	v_add_co_ci_u32_e32 v7, vcc_lo, 0, v12, vcc_lo
	s_delay_alu instid0(VALU_DEP_2) | instskip(SKIP_1) | instid1(VALU_DEP_2)
	v_add_co_u32 v4, vcc_lo, v4, v11
	s_wait_alu 0xfffd
	v_add_co_ci_u32_e32 v9, vcc_lo, 0, v7, vcc_lo
	s_delay_alu instid0(VALU_DEP_2) | instskip(SKIP_1) | instid1(VALU_DEP_3)
	v_mul_lo_u32 v10, s19, v4
	v_mad_co_u64_u32 v[7:8], null, s18, v4, 0
	v_mul_lo_u32 v11, s18, v9
	s_delay_alu instid0(VALU_DEP_2) | instskip(NEXT) | instid1(VALU_DEP_2)
	v_sub_co_u32 v7, vcc_lo, v5, v7
	v_add3_u32 v8, v8, v11, v10
	s_delay_alu instid0(VALU_DEP_1) | instskip(SKIP_1) | instid1(VALU_DEP_1)
	v_sub_nc_u32_e32 v10, v6, v8
	s_wait_alu 0xfffd
	v_subrev_co_ci_u32_e64 v10, s2, s19, v10, vcc_lo
	v_add_co_u32 v11, s2, v4, 2
	s_wait_alu 0xf1ff
	v_add_co_ci_u32_e64 v12, s2, 0, v9, s2
	v_sub_co_u32 v13, s2, v7, s18
	v_sub_co_ci_u32_e32 v8, vcc_lo, v6, v8, vcc_lo
	s_wait_alu 0xf1ff
	v_subrev_co_ci_u32_e64 v10, s2, 0, v10, s2
	s_delay_alu instid0(VALU_DEP_3) | instskip(NEXT) | instid1(VALU_DEP_3)
	v_cmp_le_u32_e32 vcc_lo, s18, v13
	v_cmp_eq_u32_e64 s2, s19, v8
	s_wait_alu 0xfffd
	v_cndmask_b32_e64 v13, 0, -1, vcc_lo
	v_cmp_le_u32_e32 vcc_lo, s19, v10
	s_wait_alu 0xfffd
	v_cndmask_b32_e64 v14, 0, -1, vcc_lo
	v_cmp_le_u32_e32 vcc_lo, s18, v7
	;; [unrolled: 3-line block ×3, first 2 shown]
	s_wait_alu 0xfffd
	v_cndmask_b32_e64 v15, 0, -1, vcc_lo
	v_cmp_eq_u32_e32 vcc_lo, s19, v10
	s_wait_alu 0xf1ff
	s_delay_alu instid0(VALU_DEP_2)
	v_cndmask_b32_e64 v7, v15, v7, s2
	s_wait_alu 0xfffd
	v_cndmask_b32_e32 v10, v14, v13, vcc_lo
	v_add_co_u32 v13, vcc_lo, v4, 1
	s_wait_alu 0xfffd
	v_add_co_ci_u32_e32 v14, vcc_lo, 0, v9, vcc_lo
	s_delay_alu instid0(VALU_DEP_3) | instskip(SKIP_1) | instid1(VALU_DEP_2)
	v_cmp_ne_u32_e32 vcc_lo, 0, v10
	s_wait_alu 0xfffd
	v_dual_cndmask_b32 v11, v13, v11 :: v_dual_cndmask_b32 v8, v14, v12
	v_cmp_ne_u32_e32 vcc_lo, 0, v7
	s_wait_alu 0xfffd
	s_delay_alu instid0(VALU_DEP_2)
	v_dual_cndmask_b32 v10, v9, v8 :: v_dual_cndmask_b32 v9, v4, v11
.LBB0_4:                                ;   in Loop: Header=BB0_2 Depth=1
	s_wait_alu 0xfffe
	s_and_not1_saveexec_b32 s2, s20
	s_cbranch_execz .LBB0_6
; %bb.5:                                ;   in Loop: Header=BB0_2 Depth=1
	v_cvt_f32_u32_e32 v4, s18
	s_sub_co_i32 s20, 0, s18
	v_mov_b32_e32 v10, v3
	s_delay_alu instid0(VALU_DEP_2) | instskip(NEXT) | instid1(TRANS32_DEP_1)
	v_rcp_iflag_f32_e32 v4, v4
	v_mul_f32_e32 v4, 0x4f7ffffe, v4
	s_delay_alu instid0(VALU_DEP_1) | instskip(SKIP_1) | instid1(VALU_DEP_1)
	v_cvt_u32_f32_e32 v4, v4
	s_wait_alu 0xfffe
	v_mul_lo_u32 v7, s20, v4
	s_delay_alu instid0(VALU_DEP_1) | instskip(NEXT) | instid1(VALU_DEP_1)
	v_mul_hi_u32 v7, v4, v7
	v_add_nc_u32_e32 v4, v4, v7
	s_delay_alu instid0(VALU_DEP_1) | instskip(NEXT) | instid1(VALU_DEP_1)
	v_mul_hi_u32 v4, v5, v4
	v_mul_lo_u32 v7, v4, s18
	v_add_nc_u32_e32 v8, 1, v4
	s_delay_alu instid0(VALU_DEP_2) | instskip(NEXT) | instid1(VALU_DEP_1)
	v_sub_nc_u32_e32 v7, v5, v7
	v_subrev_nc_u32_e32 v9, s18, v7
	v_cmp_le_u32_e32 vcc_lo, s18, v7
	s_wait_alu 0xfffd
	s_delay_alu instid0(VALU_DEP_2) | instskip(NEXT) | instid1(VALU_DEP_1)
	v_dual_cndmask_b32 v7, v7, v9 :: v_dual_cndmask_b32 v4, v4, v8
	v_cmp_le_u32_e32 vcc_lo, s18, v7
	s_delay_alu instid0(VALU_DEP_2) | instskip(SKIP_1) | instid1(VALU_DEP_1)
	v_add_nc_u32_e32 v8, 1, v4
	s_wait_alu 0xfffd
	v_cndmask_b32_e32 v9, v4, v8, vcc_lo
.LBB0_6:                                ;   in Loop: Header=BB0_2 Depth=1
	s_wait_alu 0xfffe
	s_or_b32 exec_lo, exec_lo, s2
	s_load_b64 s[20:21], s[12:13], 0x0
	v_mul_lo_u32 v4, v10, s18
	v_mul_lo_u32 v11, v9, s19
	v_mad_co_u64_u32 v[7:8], null, v9, s18, 0
	s_add_nc_u64 s[14:15], s[14:15], 1
	s_add_nc_u64 s[12:13], s[12:13], 8
	s_wait_alu 0xfffe
	v_cmp_ge_u64_e64 s2, s[14:15], s[6:7]
	s_add_nc_u64 s[16:17], s[16:17], 8
	s_delay_alu instid0(VALU_DEP_2) | instskip(NEXT) | instid1(VALU_DEP_3)
	v_add3_u32 v4, v8, v11, v4
	v_sub_co_u32 v5, vcc_lo, v5, v7
	s_wait_alu 0xfffd
	s_delay_alu instid0(VALU_DEP_2) | instskip(SKIP_3) | instid1(VALU_DEP_2)
	v_sub_co_ci_u32_e32 v4, vcc_lo, v6, v4, vcc_lo
	s_and_b32 vcc_lo, exec_lo, s2
	s_wait_kmcnt 0x0
	v_mul_lo_u32 v6, s21, v5
	v_mul_lo_u32 v4, s20, v4
	v_mad_co_u64_u32 v[1:2], null, s20, v5, v[1:2]
	s_delay_alu instid0(VALU_DEP_1)
	v_add3_u32 v2, v6, v2, v4
	s_wait_alu 0xfffe
	s_cbranch_vccnz .LBB0_9
; %bb.7:                                ;   in Loop: Header=BB0_2 Depth=1
	v_dual_mov_b32 v5, v9 :: v_dual_mov_b32 v6, v10
	s_branch .LBB0_2
.LBB0_8:
	v_dual_mov_b32 v10, v6 :: v_dual_mov_b32 v9, v5
.LBB0_9:
	s_lshl_b64 s[2:3], s[6:7], 3
	v_mul_hi_u32 v3, 0x12f684c, v0
	s_wait_alu 0xfffe
	s_add_nc_u64 s[2:3], s[10:11], s[2:3]
	s_load_b64 s[0:1], s[0:1], 0x20
	s_load_b64 s[2:3], s[2:3], 0x0
	s_delay_alu instid0(VALU_DEP_1) | instskip(NEXT) | instid1(VALU_DEP_1)
	v_mul_u32_u24_e32 v3, 0xd8, v3
	v_sub_nc_u32_e32 v8, v0, v3
	s_delay_alu instid0(VALU_DEP_1)
	v_add_nc_u32_e32 v12, 0xd8, v8
	v_add_nc_u32_e32 v6, 0x1b0, v8
	;; [unrolled: 1-line block ×4, first 2 shown]
	s_wait_kmcnt 0x0
	v_cmp_gt_u64_e32 vcc_lo, s[0:1], v[9:10]
	v_mul_lo_u32 v3, s2, v10
	v_mul_lo_u32 v5, s3, v9
	v_mad_co_u64_u32 v[14:15], null, s2, v9, v[1:2]
	v_cmp_le_u64_e64 s0, s[0:1], v[9:10]
	v_add_nc_u32_e32 v2, 0x438, v8
	s_delay_alu instid0(VALU_DEP_3) | instskip(NEXT) | instid1(VALU_DEP_3)
	v_add3_u32 v15, v5, v15, v3
	s_and_saveexec_b32 s1, s0
	s_wait_alu 0xfffe
	s_xor_b32 s0, exec_lo, s1
; %bb.10:
	v_dual_mov_b32 v9, 0 :: v_dual_add_nc_u32 v12, 0xd8, v8
	v_add_nc_u32_e32 v6, 0x1b0, v8
	v_add_nc_u32_e32 v4, 0x360, v8
	;; [unrolled: 1-line block ×3, first 2 shown]
	s_delay_alu instid0(VALU_DEP_4)
	v_dual_mov_b32 v5, v9 :: v_dual_add_nc_u32 v2, 0x438, v8
	v_mov_b32_e32 v13, v9
	v_mov_b32_e32 v7, v9
	;; [unrolled: 1-line block ×4, first 2 shown]
; %bb.11:
	s_wait_alu 0xfffe
	s_or_saveexec_b32 s1, s0
	v_lshlrev_b64_e32 v[10:11], 4, v[14:15]
	s_wait_alu 0xfffe
	s_xor_b32 exec_lo, exec_lo, s1
	s_cbranch_execz .LBB0_13
; %bb.12:
	v_mov_b32_e32 v9, 0
	s_delay_alu instid0(VALU_DEP_2) | instskip(SKIP_2) | instid1(VALU_DEP_3)
	v_add_co_u32 v1, s0, s8, v10
	s_wait_alu 0xf1ff
	v_add_co_ci_u32_e64 v3, s0, s9, v11, s0
	v_lshlrev_b64_e32 v[13:14], 4, v[8:9]
	v_lshl_add_u32 v62, v8, 4, 0
	v_mov_b32_e32 v7, v9
	v_mov_b32_e32 v5, v9
	s_delay_alu instid0(VALU_DEP_4)
	v_add_co_u32 v58, s0, v1, v13
	s_wait_alu 0xf1ff
	v_add_co_ci_u32_e64 v59, s0, v3, v14, s0
	v_mov_b32_e32 v13, v9
	v_mov_b32_e32 v1, v9
	;; [unrolled: 1-line block ×3, first 2 shown]
	s_clause 0xb
	global_load_b128 v[14:17], v[58:59], off
	global_load_b128 v[18:21], v[58:59], off offset:3456
	global_load_b128 v[22:25], v[58:59], off offset:6912
	;; [unrolled: 1-line block ×11, first 2 shown]
	s_wait_loadcnt 0xb
	ds_store_b128 v62, v[14:17]
	s_wait_loadcnt 0xa
	ds_store_b128 v62, v[18:21] offset:3456
	s_wait_loadcnt 0x9
	ds_store_b128 v62, v[22:25] offset:6912
	;; [unrolled: 2-line block ×11, first 2 shown]
.LBB0_13:
	s_or_b32 exec_lo, exec_lo, s1
	v_lshlrev_b32_e32 v25, 4, v8
	global_wb scope:SCOPE_SE
	s_wait_dscnt 0x0
	s_barrier_signal -1
	s_barrier_wait -1
	global_inv scope:SCOPE_SE
	v_add_nc_u32_e32 v29, 0, v25
	s_mov_b32 s2, 0xe8584caa
	s_mov_b32 s3, 0xbfebb67a
	;; [unrolled: 1-line block ×3, first 2 shown]
	s_wait_alu 0xfffe
	s_mov_b32 s0, s2
	ds_load_b128 v[14:17], v29 offset:34560
	ds_load_b128 v[18:21], v29 offset:20736
	;; [unrolled: 1-line block ×10, first 2 shown]
	s_wait_dscnt 0x8
	v_add_f64_e32 v[22:23], v[20:21], v[16:17]
	v_add_f64_e32 v[62:63], v[18:19], v[14:15]
	s_wait_dscnt 0x6
	v_add_f64_e32 v[26:27], v[32:33], v[36:37]
	v_add_f64_e64 v[64:65], v[18:19], -v[14:15]
	v_add_f64_e32 v[66:67], v[30:31], v[34:35]
	v_add_f64_e64 v[70:71], v[30:31], -v[34:35]
	s_wait_dscnt 0x2
	v_add_f64_e32 v[72:73], v[50:51], v[46:47]
	v_add_f64_e32 v[74:75], v[52:53], v[48:49]
	v_add_f64_e64 v[76:77], v[20:21], -v[16:17]
	s_wait_dscnt 0x0
	v_add_f64_e32 v[82:83], v[54:55], v[58:59]
	v_add_f64_e32 v[84:85], v[56:57], v[60:61]
	v_add_f64_e64 v[86:87], v[32:33], -v[36:37]
	v_add_f64_e64 v[92:93], v[52:53], -v[48:49]
	v_add_f64_e32 v[18:19], v[38:39], v[18:19]
	v_add_f64_e32 v[20:21], v[40:41], v[20:21]
	;; [unrolled: 1-line block ×4, first 2 shown]
	v_fma_f64 v[22:23], v[22:23], -0.5, v[40:41]
	v_fma_f64 v[78:79], v[62:63], -0.5, v[38:39]
	v_fma_f64 v[26:27], v[26:27], -0.5, v[44:45]
	v_add_f64_e64 v[40:41], v[56:57], -v[60:61]
	v_fma_f64 v[88:89], v[66:67], -0.5, v[42:43]
	ds_load_b128 v[66:69], v29 offset:3456
	v_add_f64_e32 v[14:15], v[18:19], v[14:15]
	v_add_f64_e32 v[30:31], v[30:31], v[34:35]
	s_wait_dscnt 0x0
	v_add_f64_e32 v[38:39], v[66:67], v[54:55]
	v_add_f64_e32 v[56:57], v[68:69], v[56:57]
	v_add_f64_e64 v[54:55], v[54:55], -v[58:59]
	v_fma_f64 v[66:67], v[82:83], -0.5, v[66:67]
	v_fma_f64 v[68:69], v[84:85], -0.5, v[68:69]
	s_wait_alu 0xfffe
	v_fma_f64 v[80:81], v[64:65], s[0:1], v[22:23]
	v_fma_f64 v[22:23], v[64:65], s[2:3], v[22:23]
	;; [unrolled: 1-line block ×4, first 2 shown]
	ds_load_b128 v[62:65], v29
	global_wb scope:SCOPE_SE
	s_wait_dscnt 0x0
	s_barrier_signal -1
	s_barrier_wait -1
	global_inv scope:SCOPE_SE
	v_add_f64_e32 v[70:71], v[62:63], v[50:51]
	v_add_f64_e32 v[52:53], v[64:65], v[52:53]
	v_add_f64_e64 v[50:51], v[50:51], -v[46:47]
	v_fma_f64 v[42:43], v[72:73], -0.5, v[62:63]
	v_fma_f64 v[44:45], v[74:75], -0.5, v[64:65]
	v_fma_f64 v[62:63], v[76:77], s[2:3], v[78:79]
	v_fma_f64 v[64:65], v[76:77], s[0:1], v[78:79]
	;; [unrolled: 1-line block ×3, first 2 shown]
	v_add_f64_e32 v[58:59], v[38:39], v[58:59]
	v_add_f64_e32 v[56:57], v[56:57], v[60:61]
	;; [unrolled: 1-line block ×3, first 2 shown]
	v_fma_f64 v[96:97], v[54:55], s[0:1], v[68:69]
	v_fma_f64 v[98:99], v[54:55], s[2:3], v[68:69]
	v_fma_f64 v[94:95], v[40:41], s[0:1], v[66:67]
	v_mul_f64_e32 v[72:73], s[2:3], v[80:81]
	v_mul_f64_e32 v[76:77], 0.5, v[80:81]
	v_mul_f64_e32 v[74:75], s[2:3], v[22:23]
	v_mul_f64_e32 v[22:23], -0.5, v[22:23]
	v_fma_f64 v[80:81], v[86:87], s[0:1], v[88:89]
	v_mul_f64_e32 v[82:83], s[2:3], v[90:91]
	v_mul_f64_e32 v[86:87], 0.5, v[90:91]
	v_mul_f64_e32 v[84:85], s[2:3], v[26:27]
	v_mul_f64_e32 v[26:27], -0.5, v[26:27]
	v_add_f64_e32 v[46:47], v[70:71], v[46:47]
	v_add_f64_e32 v[48:49], v[52:53], v[48:49]
	;; [unrolled: 1-line block ×3, first 2 shown]
	v_fma_f64 v[70:71], v[92:93], s[2:3], v[42:43]
	v_fma_f64 v[90:91], v[50:51], s[0:1], v[44:45]
	;; [unrolled: 1-line block ×4, first 2 shown]
	v_and_b32_e32 v17, 0xff, v8
	v_add_f64_e32 v[36:37], v[58:59], v[30:31]
	v_add_f64_e32 v[38:39], v[56:57], v[60:61]
	v_add_f64_e64 v[42:43], v[56:57], -v[60:61]
	s_delay_alu instid0(VALU_DEP_4)
	v_mul_lo_u16 v16, 0xab, v17
	v_mul_lo_u16 v17, v17, 57
	v_fma_f64 v[72:73], v[62:63], 0.5, v[72:73]
	v_fma_f64 v[62:63], v[62:63], s[0:1], v[76:77]
	v_fma_f64 v[74:75], v[64:65], -0.5, v[74:75]
	v_fma_f64 v[22:23], v[64:65], s[0:1], v[22:23]
	v_fma_f64 v[76:77], v[40:41], s[2:3], v[66:67]
	v_fma_f64 v[68:69], v[78:79], 0.5, v[82:83]
	v_fma_f64 v[78:79], v[78:79], s[0:1], v[86:87]
	v_fma_f64 v[82:83], v[80:81], -0.5, v[84:85]
	v_fma_f64 v[26:27], v[80:81], s[0:1], v[26:27]
	v_add_f64_e64 v[40:41], v[58:59], -v[30:31]
	v_lshl_add_u32 v30, v4, 4, 0
	v_lshrrev_b16 v101, 11, v17
	v_lshlrev_b64_e32 v[4:5], 4, v[4:5]
	s_delay_alu instid0(VALU_DEP_2) | instskip(NEXT) | instid1(VALU_DEP_1)
	v_mul_lo_u16 v17, v101, 36
	v_sub_nc_u16 v17, v8, v17
	v_add_f64_e32 v[18:19], v[46:47], v[14:15]
	v_add_f64_e64 v[32:33], v[46:47], -v[14:15]
	v_add_f64_e32 v[20:21], v[48:49], v[52:53]
	v_add_f64_e64 v[34:35], v[48:49], -v[52:53]
	v_lshrrev_b16 v15, 10, v16
	s_delay_alu instid0(VALU_DEP_1) | instskip(NEXT) | instid1(VALU_DEP_1)
	v_mul_lo_u16 v14, v15, 6
	v_sub_nc_u16 v14, v8, v14
	v_add_f64_e32 v[44:45], v[70:71], v[72:73]
	v_add_f64_e32 v[46:47], v[90:91], v[62:63]
	;; [unrolled: 1-line block ×4, first 2 shown]
	v_add_f64_e64 v[52:53], v[70:71], -v[72:73]
	v_add_f64_e64 v[54:55], v[90:91], -v[62:63]
	;; [unrolled: 1-line block ×4, first 2 shown]
	v_add_f64_e32 v[60:61], v[76:77], v[68:69]
	v_add_f64_e32 v[62:63], v[96:97], v[78:79]
	v_add_f64_e32 v[64:65], v[94:95], v[82:83]
	v_add_f64_e32 v[66:67], v[98:99], v[26:27]
	v_add_f64_e64 v[68:69], v[76:77], -v[68:69]
	v_add_f64_e64 v[70:71], v[96:97], -v[78:79]
	v_add_f64_e64 v[72:73], v[94:95], -v[82:83]
	v_add_f64_e64 v[74:75], v[98:99], -v[26:27]
	v_and_b32_e32 v16, 0xff, v14
	v_mul_i32_i24_e32 v22, 6, v12
	s_delay_alu instid0(VALU_DEP_2) | instskip(NEXT) | instid1(VALU_DEP_2)
	v_mul_u32_u24_e32 v14, 5, v16
	v_lshl_add_u32 v31, v22, 4, 0
	v_mad_u32_u24 v22, 0x50, v8, v29
	v_lshlrev_b32_e32 v16, 4, v16
	ds_store_b128 v22, v[18:21]
	ds_store_b128 v22, v[44:47] offset:16
	ds_store_b128 v22, v[48:51] offset:32
	;; [unrolled: 1-line block ×5, first 2 shown]
	ds_store_b128 v31, v[36:39]
	ds_store_b128 v31, v[60:63] offset:16
	ds_store_b128 v31, v[64:67] offset:32
	;; [unrolled: 1-line block ×5, first 2 shown]
	v_lshlrev_b32_e32 v24, 4, v14
	global_wb scope:SCOPE_SE
	s_wait_dscnt 0x0
	s_barrier_signal -1
	s_barrier_wait -1
	global_inv scope:SCOPE_SE
	s_clause 0x4
	global_load_b128 v[20:23], v24, s[4:5]
	global_load_b128 v[33:36], v24, s[4:5] offset:16
	global_load_b128 v[37:40], v24, s[4:5] offset:32
	;; [unrolled: 1-line block ×4, first 2 shown]
	v_and_b32_e32 v14, 0xffff, v12
	v_lshl_add_u32 v32, v6, 4, 0
	v_mad_i32_i24 v26, 0xffffffb0, v12, v31
	v_lshlrev_b64_e32 v[6:7], 4, v[6:7]
	s_delay_alu instid0(VALU_DEP_4) | instskip(SKIP_1) | instid1(VALU_DEP_2)
	v_mul_u32_u24_e32 v18, 0xaaab, v14
	v_mul_u32_u24_e32 v14, 0xe38f, v14
	v_lshrrev_b32_e32 v18, 18, v18
	s_delay_alu instid0(VALU_DEP_2) | instskip(NEXT) | instid1(VALU_DEP_2)
	v_lshrrev_b32_e32 v14, 21, v14
	v_mul_lo_u16 v19, v18, 6
	s_delay_alu instid0(VALU_DEP_1) | instskip(NEXT) | instid1(VALU_DEP_1)
	v_sub_nc_u16 v19, v12, v19
	v_and_b32_e32 v19, 0xffff, v19
	s_delay_alu instid0(VALU_DEP_1) | instskip(SKIP_1) | instid1(VALU_DEP_2)
	v_mul_u32_u24_e32 v24, 5, v19
	v_lshlrev_b32_e32 v19, 4, v19
	v_lshlrev_b32_e32 v24, 4, v24
	s_clause 0x4
	global_load_b128 v[49:52], v24, s[4:5] offset:32
	global_load_b128 v[53:56], v24, s[4:5] offset:64
	global_load_b128 v[57:60], v24, s[4:5]
	global_load_b128 v[61:64], v24, s[4:5] offset:16
	global_load_b128 v[65:68], v24, s[4:5] offset:48
	ds_load_b128 v[69:72], v32
	ds_load_b128 v[77:80], v30
	ds_load_b128 v[73:76], v29 offset:31104
	ds_load_b128 v[85:88], v29 offset:20736
	ds_load_b128 v[81:84], v26
	v_and_b32_e32 v24, 0xffff, v15
	v_and_b32_e32 v15, 0xff, v17
	v_mul_u32_u24_e32 v17, 0x240, v18
	s_delay_alu instid0(VALU_DEP_3) | instskip(NEXT) | instid1(VALU_DEP_3)
	v_mul_u32_u24_e32 v18, 0x240, v24
	v_mul_u32_u24_e32 v24, 5, v15
	s_delay_alu instid0(VALU_DEP_3) | instskip(SKIP_1) | instid1(VALU_DEP_4)
	v_add3_u32 v17, 0, v17, v19
	v_lshlrev_b32_e32 v15, 4, v15
	v_add3_u32 v16, 0, v18, v16
	s_wait_loadcnt_dscnt 0x904
	v_mul_f64_e32 v[27:28], v[71:72], v[22:23]
	v_mul_f64_e32 v[22:23], v[69:70], v[22:23]
	s_wait_loadcnt_dscnt 0x803
	v_mul_f64_e32 v[89:90], v[79:80], v[35:36]
	v_mul_f64_e32 v[35:36], v[77:78], v[35:36]
	s_wait_loadcnt_dscnt 0x701
	v_mul_f64_e32 v[93:94], v[87:88], v[39:40]
	v_mul_f64_e32 v[39:40], v[85:86], v[39:40]
	v_fma_f64 v[27:28], v[69:70], v[20:21], v[27:28]
	v_fma_f64 v[91:92], v[71:72], v[20:21], -v[22:23]
	ds_load_b128 v[20:23], v29 offset:17280
	v_fma_f64 v[77:78], v[77:78], v[33:34], v[89:90]
	v_fma_f64 v[79:80], v[79:80], v[33:34], -v[35:36]
	ds_load_b128 v[33:36], v29 offset:27648
	ds_load_b128 v[69:72], v29 offset:24192
	v_fma_f64 v[85:86], v[85:86], v[37:38], v[93:94]
	v_fma_f64 v[87:88], v[87:88], v[37:38], -v[39:40]
	ds_load_b128 v[37:40], v29 offset:34560
	s_wait_loadcnt_dscnt 0x602
	v_mul_f64_e32 v[89:90], v[35:36], v[43:44]
	v_mul_f64_e32 v[43:44], v[33:34], v[43:44]
	s_delay_alu instid0(VALU_DEP_2) | instskip(NEXT) | instid1(VALU_DEP_2)
	v_fma_f64 v[89:90], v[33:34], v[41:42], v[89:90]
	v_fma_f64 v[41:42], v[35:36], v[41:42], -v[43:44]
	ds_load_b128 v[33:36], v29 offset:38016
	s_wait_loadcnt_dscnt 0x501
	v_mul_f64_e32 v[43:44], v[39:40], v[47:48]
	v_mul_f64_e32 v[47:48], v[37:38], v[47:48]
	v_add_f64_e32 v[93:94], v[79:80], v[41:42]
	s_delay_alu instid0(VALU_DEP_3) | instskip(NEXT) | instid1(VALU_DEP_3)
	v_fma_f64 v[43:44], v[37:38], v[45:46], v[43:44]
	v_fma_f64 v[45:46], v[39:40], v[45:46], -v[47:48]
	s_wait_loadcnt_dscnt 0x300
	v_mul_f64_e32 v[47:48], v[33:34], v[55:56]
	v_mul_f64_e32 v[55:56], v[35:36], v[55:56]
	;; [unrolled: 1-line block ×4, first 2 shown]
	s_delay_alu instid0(VALU_DEP_4) | instskip(NEXT) | instid1(VALU_DEP_4)
	v_fma_f64 v[35:36], v[35:36], v[53:54], -v[47:48]
	v_fma_f64 v[33:34], v[33:34], v[53:54], v[55:56]
	s_wait_loadcnt 0x1
	v_mul_f64_e32 v[47:48], v[22:23], v[63:64]
	v_mul_f64_e32 v[53:54], v[20:21], v[63:64]
	v_fma_f64 v[51:52], v[69:70], v[49:50], v[37:38]
	v_fma_f64 v[49:50], v[71:72], v[49:50], -v[39:40]
	ds_load_b128 v[37:40], v29 offset:10368
	v_add_f64_e32 v[63:64], v[87:88], v[45:46]
	s_wait_loadcnt 0x0
	v_mul_f64_e32 v[55:56], v[75:76], v[67:68]
	v_fma_f64 v[47:48], v[20:21], v[61:62], v[47:48]
	v_fma_f64 v[53:54], v[22:23], v[61:62], -v[53:54]
	ds_load_b128 v[20:23], v29
	s_wait_dscnt 0x1
	v_mul_f64_e32 v[69:70], v[39:40], v[59:60]
	v_mul_f64_e32 v[59:60], v[37:38], v[59:60]
	v_add_f64_e32 v[61:62], v[85:86], v[43:44]
	v_fma_f64 v[63:64], v[63:64], -0.5, v[91:92]
	v_fma_f64 v[55:56], v[73:74], v[65:66], v[55:56]
	v_add_f64_e64 v[71:72], v[51:52], -v[33:34]
	v_add_f64_e32 v[91:92], v[91:92], v[87:88]
	v_add_f64_e64 v[87:88], v[87:88], -v[45:46]
	global_wb scope:SCOPE_SE
	s_wait_dscnt 0x0
	s_barrier_signal -1
	s_barrier_wait -1
	global_inv scope:SCOPE_SE
	v_fma_f64 v[37:38], v[37:38], v[57:58], v[69:70]
	v_fma_f64 v[39:40], v[39:40], v[57:58], -v[59:60]
	v_add_f64_e32 v[57:58], v[49:50], v[35:36]
	v_mul_f64_e32 v[59:60], v[73:74], v[67:68]
	v_add_f64_e64 v[67:68], v[85:86], -v[43:44]
	v_add_f64_e32 v[69:70], v[51:52], v[33:34]
	v_add_f64_e32 v[73:74], v[77:78], v[89:90]
	;; [unrolled: 1-line block ×3, first 2 shown]
	v_fma_f64 v[27:28], v[61:62], -0.5, v[27:28]
	v_add_f64_e32 v[61:62], v[47:48], v[55:56]
	v_add_f64_e32 v[45:46], v[91:92], v[45:46]
	;; [unrolled: 1-line block ×3, first 2 shown]
	v_fma_f64 v[57:58], v[57:58], -0.5, v[39:40]
	v_fma_f64 v[59:60], v[75:76], v[65:66], -v[59:60]
	v_add_f64_e32 v[65:66], v[20:21], v[77:78]
	v_fma_f64 v[37:38], v[69:70], -0.5, v[37:38]
	v_fma_f64 v[69:70], v[67:68], s[0:1], v[63:64]
	v_fma_f64 v[63:64], v[67:68], s[2:3], v[63:64]
	v_add_f64_e32 v[75:76], v[22:23], v[79:80]
	v_add_f64_e32 v[39:40], v[39:40], v[49:50]
	v_add_f64_e64 v[49:50], v[49:50], -v[35:36]
	v_add_f64_e64 v[79:80], v[79:80], -v[41:42]
	;; [unrolled: 1-line block ×3, first 2 shown]
	v_fma_f64 v[20:21], v[73:74], -0.5, v[20:21]
	v_fma_f64 v[22:23], v[93:94], -0.5, v[22:23]
	v_fma_f64 v[73:74], v[87:88], s[2:3], v[27:28]
	v_fma_f64 v[27:28], v[87:88], s[0:1], v[27:28]
	v_fma_f64 v[61:62], v[61:62], -0.5, v[81:82]
	v_add_f64_e32 v[43:44], v[85:86], v[43:44]
	v_add_f64_e32 v[51:52], v[51:52], v[33:34]
	v_fma_f64 v[67:68], v[71:72], s[0:1], v[57:58]
	v_fma_f64 v[57:58], v[71:72], s[2:3], v[57:58]
	v_add_f64_e32 v[71:72], v[53:54], v[59:60]
	v_add_f64_e32 v[65:66], v[65:66], v[89:90]
	;; [unrolled: 1-line block ×3, first 2 shown]
	v_mul_f64_e32 v[87:88], s[2:3], v[69:70]
	v_mul_f64_e32 v[69:70], 0.5, v[69:70]
	v_mul_f64_e32 v[93:94], s[2:3], v[63:64]
	v_mul_f64_e32 v[63:64], -0.5, v[63:64]
	v_add_f64_e32 v[41:42], v[75:76], v[41:42]
	v_add_f64_e32 v[75:76], v[83:84], v[53:54]
	v_add_f64_e64 v[53:54], v[53:54], -v[59:60]
	v_add_f64_e64 v[47:48], v[47:48], -v[55:56]
	v_fma_f64 v[81:82], v[49:50], s[2:3], v[37:38]
	v_fma_f64 v[37:38], v[49:50], s[0:1], v[37:38]
	;; [unrolled: 1-line block ×4, first 2 shown]
	v_mul_f64_e32 v[49:50], s[2:3], v[67:68]
	v_mul_f64_e32 v[67:68], 0.5, v[67:68]
	v_fma_f64 v[71:72], v[71:72], -0.5, v[83:84]
	v_mul_f64_e32 v[83:84], s[2:3], v[57:58]
	v_mul_f64_e32 v[57:58], -0.5, v[57:58]
	v_add_f64_e32 v[55:56], v[89:90], v[55:56]
	v_fma_f64 v[89:90], v[77:78], s[0:1], v[22:23]
	v_fma_f64 v[87:88], v[73:74], 0.5, v[87:88]
	v_fma_f64 v[69:70], v[73:74], s[0:1], v[69:70]
	v_fma_f64 v[77:78], v[77:78], s[2:3], v[22:23]
	v_fma_f64 v[91:92], v[27:28], -0.5, v[93:94]
	v_fma_f64 v[27:28], v[27:28], s[0:1], v[63:64]
	v_add_f64_e32 v[59:60], v[75:76], v[59:60]
	v_add_f64_e32 v[75:76], v[39:40], v[35:36]
	v_fma_f64 v[73:74], v[53:54], s[2:3], v[61:62]
	v_fma_f64 v[93:94], v[53:54], s[0:1], v[61:62]
	v_add_f64_e32 v[20:21], v[65:66], v[43:44]
	v_add_f64_e32 v[22:23], v[41:42], v[45:46]
	v_add_f64_e64 v[35:36], v[41:42], -v[45:46]
	v_add_f64_e64 v[33:34], v[65:66], -v[43:44]
	v_fma_f64 v[95:96], v[47:48], s[0:1], v[71:72]
	v_fma_f64 v[97:98], v[47:48], s[2:3], v[71:72]
	v_fma_f64 v[71:72], v[81:82], 0.5, v[49:50]
	v_fma_f64 v[81:82], v[81:82], s[0:1], v[67:68]
	v_fma_f64 v[83:84], v[37:38], -0.5, v[83:84]
	v_fma_f64 v[99:100], v[37:38], s[0:1], v[57:58]
	v_add_f64_e32 v[45:46], v[85:86], v[87:88]
	v_add_f64_e32 v[47:48], v[89:90], v[69:70]
	;; [unrolled: 1-line block ×3, first 2 shown]
	v_add_f64_e64 v[41:42], v[55:56], -v[51:52]
	v_add_f64_e32 v[49:50], v[79:80], v[91:92]
	v_add_f64_e32 v[51:52], v[77:78], v[27:28]
	v_add_f64_e64 v[53:54], v[85:86], -v[87:88]
	v_add_f64_e64 v[55:56], v[89:90], -v[69:70]
	v_add_f64_e32 v[39:40], v[59:60], v[75:76]
	v_add_f64_e64 v[43:44], v[59:60], -v[75:76]
	v_add_f64_e64 v[57:58], v[79:80], -v[91:92]
	;; [unrolled: 1-line block ×3, first 2 shown]
	v_lshlrev_b32_e32 v27, 4, v24
	v_add_f64_e32 v[61:62], v[73:74], v[71:72]
	v_add_f64_e32 v[63:64], v[95:96], v[81:82]
	;; [unrolled: 1-line block ×4, first 2 shown]
	v_add_f64_e64 v[69:70], v[73:74], -v[71:72]
	v_add_f64_e64 v[71:72], v[95:96], -v[81:82]
	;; [unrolled: 1-line block ×4, first 2 shown]
	ds_store_b128 v16, v[20:23]
	ds_store_b128 v16, v[45:48] offset:96
	ds_store_b128 v16, v[49:52] offset:192
	;; [unrolled: 1-line block ×5, first 2 shown]
	ds_store_b128 v17, v[37:40]
	ds_store_b128 v17, v[61:64] offset:96
	ds_store_b128 v17, v[65:68] offset:192
	;; [unrolled: 1-line block ×5, first 2 shown]
	global_wb scope:SCOPE_SE
	s_wait_dscnt 0x0
	s_barrier_signal -1
	s_barrier_wait -1
	global_inv scope:SCOPE_SE
	s_clause 0x4
	global_load_b128 v[17:20], v27, s[4:5] offset:480
	global_load_b128 v[21:24], v27, s[4:5] offset:496
	global_load_b128 v[33:36], v27, s[4:5] offset:512
	global_load_b128 v[37:40], v27, s[4:5] offset:528
	global_load_b128 v[41:44], v27, s[4:5] offset:544
	v_mul_lo_u16 v16, v14, 36
	v_mul_u32_u24_e32 v14, 0xd80, v14
	s_delay_alu instid0(VALU_DEP_2) | instskip(NEXT) | instid1(VALU_DEP_1)
	v_sub_nc_u16 v16, v12, v16
	v_and_b32_e32 v16, 0xffff, v16
	s_delay_alu instid0(VALU_DEP_1) | instskip(SKIP_1) | instid1(VALU_DEP_2)
	v_mul_u32_u24_e32 v27, 5, v16
	v_lshlrev_b32_e32 v16, 4, v16
	v_lshlrev_b32_e32 v27, 4, v27
	s_clause 0x4
	global_load_b128 v[45:48], v27, s[4:5] offset:512
	global_load_b128 v[49:52], v27, s[4:5] offset:544
	global_load_b128 v[53:56], v27, s[4:5] offset:480
	global_load_b128 v[57:60], v27, s[4:5] offset:496
	global_load_b128 v[61:64], v27, s[4:5] offset:528
	ds_load_b128 v[65:68], v32
	ds_load_b128 v[69:72], v30
	ds_load_b128 v[73:76], v29 offset:31104
	ds_load_b128 v[81:84], v29 offset:20736
	ds_load_b128 v[77:80], v26
	v_add3_u32 v14, 0, v14, v16
	s_wait_loadcnt_dscnt 0x904
	v_mul_f64_e32 v[27:28], v[67:68], v[19:20]
	v_mul_f64_e32 v[19:20], v[65:66], v[19:20]
	s_wait_loadcnt_dscnt 0x803
	v_mul_f64_e32 v[85:86], v[71:72], v[23:24]
	v_mul_f64_e32 v[23:24], v[69:70], v[23:24]
	;; [unrolled: 3-line block ×3, first 2 shown]
	v_fma_f64 v[27:28], v[65:66], v[17:18], v[27:28]
	v_fma_f64 v[87:88], v[67:68], v[17:18], -v[19:20]
	ds_load_b128 v[17:20], v29 offset:17280
	v_fma_f64 v[69:70], v[69:70], v[21:22], v[85:86]
	v_fma_f64 v[71:72], v[71:72], v[21:22], -v[23:24]
	ds_load_b128 v[21:24], v29 offset:27648
	ds_load_b128 v[65:68], v29 offset:24192
	v_fma_f64 v[81:82], v[81:82], v[33:34], v[89:90]
	v_fma_f64 v[83:84], v[83:84], v[33:34], -v[35:36]
	ds_load_b128 v[33:36], v29 offset:34560
	s_wait_loadcnt_dscnt 0x602
	v_mul_f64_e32 v[85:86], v[23:24], v[39:40]
	v_mul_f64_e32 v[39:40], v[21:22], v[39:40]
	s_wait_loadcnt_dscnt 0x401
	v_mul_f64_e32 v[89:90], v[67:68], v[47:48]
	s_delay_alu instid0(VALU_DEP_3) | instskip(NEXT) | instid1(VALU_DEP_3)
	v_fma_f64 v[85:86], v[21:22], v[37:38], v[85:86]
	v_fma_f64 v[37:38], v[23:24], v[37:38], -v[39:40]
	ds_load_b128 v[21:24], v29 offset:38016
	s_wait_dscnt 0x1
	v_mul_f64_e32 v[39:40], v[35:36], v[43:44]
	v_mul_f64_e32 v[43:44], v[33:34], v[43:44]
	s_delay_alu instid0(VALU_DEP_2) | instskip(NEXT) | instid1(VALU_DEP_2)
	v_fma_f64 v[39:40], v[33:34], v[41:42], v[39:40]
	v_fma_f64 v[41:42], v[35:36], v[41:42], -v[43:44]
	v_mul_f64_e32 v[43:44], v[65:66], v[47:48]
	s_wait_loadcnt_dscnt 0x300
	v_mul_f64_e32 v[47:48], v[21:22], v[51:52]
	ds_load_b128 v[33:36], v29 offset:10368
	v_fma_f64 v[65:66], v[65:66], v[45:46], v[89:90]
	v_add_f64_e64 v[89:90], v[83:84], -v[41:42]
	v_fma_f64 v[43:44], v[67:68], v[45:46], -v[43:44]
	v_mul_f64_e32 v[45:46], v[23:24], v[51:52]
	s_wait_loadcnt_dscnt 0x200
	v_mul_f64_e32 v[51:52], v[33:34], v[55:56]
	s_wait_loadcnt 0x1
	v_mul_f64_e32 v[67:68], v[19:20], v[59:60]
	v_fma_f64 v[23:24], v[23:24], v[49:50], -v[47:48]
	v_mul_f64_e32 v[47:48], v[17:18], v[59:60]
	v_add_f64_e32 v[59:60], v[83:84], v[41:42]
	v_add_f64_e32 v[83:84], v[87:88], v[83:84]
	v_fma_f64 v[21:22], v[21:22], v[49:50], v[45:46]
	s_wait_loadcnt 0x0
	v_mul_f64_e32 v[45:46], v[75:76], v[63:64]
	v_mul_f64_e32 v[49:50], v[73:74], v[63:64]
	v_fma_f64 v[51:52], v[35:36], v[53:54], -v[51:52]
	v_fma_f64 v[63:64], v[17:18], v[57:58], v[67:68]
	v_add_f64_e32 v[17:18], v[43:44], v[23:24]
	v_fma_f64 v[47:48], v[19:20], v[57:58], -v[47:48]
	v_mul_f64_e32 v[19:20], v[35:36], v[55:56]
	v_add_f64_e64 v[55:56], v[81:82], -v[39:40]
	v_fma_f64 v[57:58], v[59:60], -0.5, v[87:88]
	v_add_f64_e32 v[41:42], v[83:84], v[41:42]
	v_add_f64_e64 v[59:60], v[65:66], -v[21:22]
	v_fma_f64 v[35:36], v[73:74], v[61:62], v[45:46]
	v_add_f64_e32 v[45:46], v[81:82], v[39:40]
	v_fma_f64 v[49:50], v[75:76], v[61:62], -v[49:50]
	v_add_f64_e32 v[73:74], v[69:70], v[85:86]
	v_fma_f64 v[61:62], v[17:18], -0.5, v[51:52]
	v_add_f64_e32 v[75:76], v[71:72], v[37:38]
	v_fma_f64 v[33:34], v[33:34], v[53:54], v[19:20]
	v_add_f64_e32 v[53:54], v[65:66], v[21:22]
	ds_load_b128 v[17:20], v29
	v_add_f64_e32 v[81:82], v[27:28], v[81:82]
	v_fma_f64 v[87:88], v[55:56], s[0:1], v[57:58]
	v_fma_f64 v[55:56], v[55:56], s[2:3], v[57:58]
	global_wb scope:SCOPE_SE
	s_wait_dscnt 0x0
	s_barrier_signal -1
	s_barrier_wait -1
	global_inv scope:SCOPE_SE
	v_add_f64_e32 v[67:68], v[17:18], v[69:70]
	v_add_f64_e64 v[69:70], v[69:70], -v[85:86]
	v_fma_f64 v[27:28], v[45:46], -0.5, v[27:28]
	v_add_f64_e32 v[45:46], v[63:64], v[35:36]
	v_add_f64_e32 v[57:58], v[47:48], v[49:50]
	v_fma_f64 v[91:92], v[59:60], s[0:1], v[61:62]
	v_fma_f64 v[59:60], v[59:60], s[2:3], v[61:62]
	v_add_f64_e64 v[61:62], v[43:44], -v[23:24]
	v_fma_f64 v[53:54], v[53:54], -0.5, v[33:34]
	v_add_f64_e32 v[33:34], v[33:34], v[65:66]
	v_add_f64_e64 v[65:66], v[71:72], -v[37:38]
	v_add_f64_e32 v[71:72], v[19:20], v[71:72]
	v_add_f64_e32 v[43:44], v[51:52], v[43:44]
	v_fma_f64 v[17:18], v[73:74], -0.5, v[17:18]
	v_fma_f64 v[19:20], v[75:76], -0.5, v[19:20]
	v_mul_f64_e32 v[75:76], s[2:3], v[87:88]
	v_mul_f64_e32 v[87:88], 0.5, v[87:88]
	v_add_f64_e32 v[51:52], v[77:78], v[63:64]
	v_add_f64_e64 v[63:64], v[63:64], -v[35:36]
	v_add_f64_e32 v[39:40], v[81:82], v[39:40]
	v_add_f64_e32 v[67:68], v[67:68], v[85:86]
	;; [unrolled: 1-line block ×3, first 2 shown]
	v_add_f64_e64 v[47:48], v[47:48], -v[49:50]
	v_fma_f64 v[73:74], v[89:90], s[2:3], v[27:28]
	v_fma_f64 v[27:28], v[89:90], s[0:1], v[27:28]
	v_mul_f64_e32 v[89:90], s[2:3], v[55:56]
	v_mul_f64_e32 v[55:56], -0.5, v[55:56]
	v_fma_f64 v[45:46], v[45:46], -0.5, v[77:78]
	v_fma_f64 v[57:58], v[57:58], -0.5, v[79:80]
	v_fma_f64 v[77:78], v[61:62], s[2:3], v[53:54]
	v_fma_f64 v[53:54], v[61:62], s[0:1], v[53:54]
	v_mul_f64_e32 v[61:62], s[2:3], v[91:92]
	v_mul_f64_e32 v[91:92], 0.5, v[91:92]
	v_mul_f64_e32 v[79:80], s[2:3], v[59:60]
	v_mul_f64_e32 v[59:60], -0.5, v[59:60]
	v_add_f64_e32 v[37:38], v[71:72], v[37:38]
	v_add_f64_e32 v[43:44], v[43:44], v[23:24]
	v_fma_f64 v[81:82], v[65:66], s[2:3], v[17:18]
	v_fma_f64 v[83:84], v[69:70], s[0:1], v[19:20]
	;; [unrolled: 1-line block ×4, first 2 shown]
	v_add_f64_e32 v[51:52], v[51:52], v[35:36]
	v_add_f64_e32 v[71:72], v[33:34], v[21:22]
	;; [unrolled: 1-line block ×4, first 2 shown]
	v_add_f64_e64 v[21:22], v[67:68], -v[39:40]
	v_fma_f64 v[75:76], v[73:74], 0.5, v[75:76]
	v_fma_f64 v[73:74], v[73:74], s[0:1], v[87:88]
	v_fma_f64 v[85:86], v[27:28], -0.5, v[89:90]
	v_fma_f64 v[27:28], v[27:28], s[0:1], v[55:56]
	v_fma_f64 v[87:88], v[47:48], s[2:3], v[45:46]
	;; [unrolled: 1-line block ×5, first 2 shown]
	v_fma_f64 v[97:98], v[77:78], 0.5, v[61:62]
	v_fma_f64 v[77:78], v[77:78], s[0:1], v[91:92]
	v_fma_f64 v[79:80], v[53:54], -0.5, v[79:80]
	v_fma_f64 v[91:92], v[53:54], s[0:1], v[59:60]
	v_add_f64_e32 v[19:20], v[37:38], v[41:42]
	v_add_f64_e64 v[23:24], v[37:38], -v[41:42]
	v_add_f64_e32 v[33:34], v[51:52], v[71:72]
	v_add_f64_e64 v[37:38], v[51:52], -v[71:72]
	;; [unrolled: 2-line block ×3, first 2 shown]
	v_add_f64_e32 v[41:42], v[81:82], v[75:76]
	v_add_f64_e32 v[43:44], v[83:84], v[73:74]
	;; [unrolled: 1-line block ×4, first 2 shown]
	v_add_f64_e64 v[49:50], v[81:82], -v[75:76]
	v_add_f64_e64 v[51:52], v[83:84], -v[73:74]
	;; [unrolled: 1-line block ×4, first 2 shown]
	v_add_f64_e32 v[57:58], v[87:88], v[97:98]
	v_add_f64_e32 v[59:60], v[93:94], v[77:78]
	;; [unrolled: 1-line block ×4, first 2 shown]
	v_add_f64_e64 v[65:66], v[87:88], -v[97:98]
	v_add_f64_e64 v[67:68], v[93:94], -v[77:78]
	;; [unrolled: 1-line block ×4, first 2 shown]
	v_and_b32_e32 v27, 0xffff, v101
	v_mul_u32_u24_e32 v28, 5, v8
	s_delay_alu instid0(VALU_DEP_2) | instskip(NEXT) | instid1(VALU_DEP_2)
	v_mul_u32_u24_e32 v27, 0xd80, v27
	v_lshlrev_b32_e32 v28, 4, v28
	s_delay_alu instid0(VALU_DEP_2)
	v_add3_u32 v15, 0, v27, v15
	ds_store_b128 v15, v[17:20]
	ds_store_b128 v15, v[41:44] offset:576
	ds_store_b128 v15, v[45:48] offset:1152
	;; [unrolled: 1-line block ×5, first 2 shown]
	ds_store_b128 v14, v[33:36]
	ds_store_b128 v14, v[57:60] offset:576
	ds_store_b128 v14, v[61:64] offset:1152
	;; [unrolled: 1-line block ×5, first 2 shown]
	global_wb scope:SCOPE_SE
	s_wait_dscnt 0x0
	s_barrier_signal -1
	s_barrier_wait -1
	global_inv scope:SCOPE_SE
	s_clause 0x4
	global_load_b128 v[14:17], v28, s[4:5] offset:3392
	global_load_b128 v[18:21], v28, s[4:5] offset:3424
	;; [unrolled: 1-line block ×5, first 2 shown]
	ds_load_b128 v[45:48], v29 offset:20736
	ds_load_b128 v[49:52], v29 offset:24192
	;; [unrolled: 1-line block ×5, first 2 shown]
	s_wait_loadcnt_dscnt 0x404
	v_mul_f64_e32 v[77:78], v[45:46], v[16:17]
	s_wait_dscnt 0x3
	v_mul_f64_e32 v[79:80], v[51:52], v[16:17]
	s_wait_loadcnt_dscnt 0x302
	v_mul_f64_e32 v[81:82], v[53:54], v[20:21]
	v_mul_f64_e32 v[27:28], v[47:48], v[16:17]
	;; [unrolled: 1-line block ×4, first 2 shown]
	s_wait_dscnt 0x1
	v_mul_f64_e32 v[85:86], v[59:60], v[20:21]
	v_mul_f64_e32 v[87:88], v[57:58], v[20:21]
	ds_load_b128 v[20:23], v32
	ds_load_b128 v[65:68], v30
	ds_load_b128 v[69:72], v29 offset:27648
	ds_load_b128 v[73:76], v29 offset:10368
	s_wait_loadcnt_dscnt 0x203
	v_mul_f64_e32 v[89:90], v[20:21], v[35:36]
	s_wait_loadcnt_dscnt 0x102
	v_mul_f64_e32 v[91:92], v[67:68], v[39:40]
	v_fma_f64 v[77:78], v[47:48], v[14:15], -v[77:78]
	v_fma_f64 v[49:50], v[49:50], v[14:15], v[79:80]
	v_mul_f64_e32 v[79:80], v[22:23], v[35:36]
	v_fma_f64 v[55:56], v[55:56], v[18:19], -v[81:82]
	v_fma_f64 v[51:52], v[51:52], v[14:15], -v[16:17]
	v_fma_f64 v[53:54], v[53:54], v[18:19], v[83:84]
	v_mul_f64_e32 v[81:82], v[65:66], v[39:40]
	v_fma_f64 v[57:58], v[57:58], v[18:19], v[85:86]
	v_fma_f64 v[18:19], v[59:60], v[18:19], -v[87:88]
	s_wait_loadcnt_dscnt 0x1
	v_mul_f64_e32 v[59:60], v[69:70], v[43:44]
	s_wait_dscnt 0x0
	v_mul_f64_e32 v[85:86], v[73:74], v[35:36]
	v_fma_f64 v[27:28], v[45:46], v[14:15], v[27:28]
	ds_load_b128 v[14:17], v29 offset:31104
	v_mul_f64_e32 v[83:84], v[71:72], v[43:44]
	v_mul_f64_e32 v[87:88], v[63:64], v[39:40]
	;; [unrolled: 1-line block ×4, first 2 shown]
	ds_load_b128 v[45:48], v26
	v_fma_f64 v[22:23], v[22:23], v[33:34], -v[89:90]
	v_fma_f64 v[65:66], v[65:66], v[37:38], v[91:92]
	v_fma_f64 v[20:21], v[20:21], v[33:34], v[79:80]
	v_add_f64_e32 v[79:80], v[77:78], v[55:56]
	v_fma_f64 v[67:68], v[67:68], v[37:38], -v[81:82]
	s_wait_dscnt 0x1
	v_mul_f64_e32 v[81:82], v[16:17], v[43:44]
	v_mul_f64_e32 v[43:44], v[14:15], v[43:44]
	v_fma_f64 v[59:60], v[71:72], v[41:42], -v[59:60]
	v_fma_f64 v[71:72], v[75:76], v[33:34], -v[85:86]
	v_add_f64_e32 v[75:76], v[51:52], v[18:19]
	v_add_f64_e64 v[85:86], v[77:78], -v[55:56]
	v_fma_f64 v[69:70], v[69:70], v[41:42], v[83:84]
	v_fma_f64 v[61:62], v[61:62], v[37:38], v[87:88]
	v_fma_f64 v[37:38], v[63:64], v[37:38], -v[39:40]
	v_add_f64_e32 v[39:40], v[27:28], v[53:54]
	v_add_f64_e64 v[63:64], v[27:28], -v[53:54]
	v_fma_f64 v[33:34], v[73:74], v[33:34], v[35:36]
	v_add_f64_e32 v[35:36], v[49:50], v[57:58]
	v_add_f64_e64 v[91:92], v[51:52], -v[18:19]
	v_fma_f64 v[79:80], v[79:80], -0.5, v[22:23]
	v_add_f64_e32 v[22:23], v[22:23], v[77:78]
	v_fma_f64 v[81:82], v[14:15], v[41:42], v[81:82]
	v_fma_f64 v[41:42], v[16:17], v[41:42], -v[43:44]
	ds_load_b128 v[14:17], v29
	v_add_f64_e64 v[43:44], v[49:50], -v[57:58]
	v_fma_f64 v[73:74], v[75:76], -0.5, v[71:72]
	v_add_f64_e32 v[83:84], v[67:68], v[59:60]
	v_add_f64_e32 v[75:76], v[65:66], v[69:70]
	;; [unrolled: 1-line block ×3, first 2 shown]
	s_wait_dscnt 0x1
	v_add_f64_e32 v[77:78], v[45:46], v[61:62]
	v_fma_f64 v[39:40], v[39:40], -0.5, v[20:21]
	v_add_f64_e32 v[20:21], v[20:21], v[27:28]
	v_add_f64_e64 v[27:28], v[67:68], -v[59:60]
	v_fma_f64 v[35:36], v[35:36], -0.5, v[33:34]
	v_add_f64_e32 v[33:34], v[33:34], v[49:50]
	global_wb scope:SCOPE_SE
	s_wait_dscnt 0x0
	s_barrier_signal -1
	s_barrier_wait -1
	global_inv scope:SCOPE_SE
	v_add_f64_e32 v[67:68], v[16:17], v[67:68]
	v_fma_f64 v[87:88], v[63:64], s[0:1], v[79:80]
	v_fma_f64 v[63:64], v[63:64], s[2:3], v[79:80]
	v_add_f64_e32 v[22:23], v[22:23], v[55:56]
	v_add_f64_e32 v[79:80], v[61:62], v[81:82]
	;; [unrolled: 1-line block ×3, first 2 shown]
	v_add_f64_e64 v[49:50], v[37:38], -v[41:42]
	v_add_f64_e32 v[37:38], v[47:48], v[37:38]
	v_fma_f64 v[93:94], v[43:44], s[0:1], v[73:74]
	v_fma_f64 v[43:44], v[43:44], s[2:3], v[73:74]
	v_add_f64_e32 v[73:74], v[14:15], v[65:66]
	v_add_f64_e64 v[65:66], v[65:66], -v[69:70]
	v_fma_f64 v[14:15], v[75:76], -0.5, v[14:15]
	v_fma_f64 v[16:17], v[83:84], -0.5, v[16:17]
	v_fma_f64 v[71:72], v[85:86], s[2:3], v[39:40]
	v_fma_f64 v[39:40], v[85:86], s[0:1], v[39:40]
	v_add_f64_e64 v[61:62], v[61:62], -v[81:82]
	v_add_f64_e32 v[20:21], v[20:21], v[53:54]
	v_add_f64_e32 v[51:52], v[51:52], v[18:19]
	;; [unrolled: 1-line block ×4, first 2 shown]
	v_mul_f64_e32 v[75:76], s[2:3], v[87:88]
	v_mul_f64_e32 v[85:86], 0.5, v[87:88]
	v_mul_f64_e32 v[83:84], s[2:3], v[63:64]
	v_mul_f64_e32 v[63:64], -0.5, v[63:64]
	v_fma_f64 v[45:46], v[79:80], -0.5, v[45:46]
	v_fma_f64 v[47:48], v[89:90], -0.5, v[47:48]
	v_fma_f64 v[79:80], v[91:92], s[2:3], v[35:36]
	v_fma_f64 v[35:36], v[91:92], s[0:1], v[35:36]
	v_mul_f64_e32 v[87:88], s[2:3], v[93:94]
	v_mul_f64_e32 v[91:92], 0.5, v[93:94]
	v_mul_f64_e32 v[89:90], s[2:3], v[43:44]
	v_mul_f64_e32 v[43:44], -0.5, v[43:44]
	v_add_f64_e32 v[69:70], v[73:74], v[69:70]
	v_add_f64_e32 v[41:42], v[37:38], v[41:42]
	;; [unrolled: 1-line block ×3, first 2 shown]
	v_fma_f64 v[55:56], v[27:28], s[2:3], v[14:15]
	v_fma_f64 v[57:58], v[65:66], s[0:1], v[16:17]
	;; [unrolled: 1-line block ×4, first 2 shown]
	v_add_f64_e32 v[16:17], v[59:60], v[22:23]
	v_fma_f64 v[67:68], v[71:72], 0.5, v[75:76]
	v_fma_f64 v[71:72], v[71:72], s[0:1], v[85:86]
	v_fma_f64 v[73:74], v[39:40], -0.5, v[83:84]
	v_fma_f64 v[63:64], v[39:40], s[0:1], v[63:64]
	v_fma_f64 v[75:76], v[49:50], s[2:3], v[45:46]
	;; [unrolled: 1-line block ×5, first 2 shown]
	v_fma_f64 v[85:86], v[79:80], 0.5, v[87:88]
	v_fma_f64 v[79:80], v[79:80], s[0:1], v[91:92]
	v_fma_f64 v[87:88], v[35:36], -0.5, v[89:90]
	v_fma_f64 v[89:90], v[35:36], s[0:1], v[43:44]
	v_add_f64_e32 v[14:15], v[69:70], v[20:21]
	v_add_f64_e32 v[35:36], v[41:42], v[51:52]
	v_add_f64_e64 v[39:40], v[41:42], -v[51:52]
	v_add_f64_e64 v[18:19], v[69:70], -v[20:21]
	;; [unrolled: 1-line block ×3, first 2 shown]
	v_add_f64_e32 v[33:34], v[53:54], v[37:38]
	v_add_f64_e64 v[37:38], v[53:54], -v[37:38]
	v_lshlrev_b64_e32 v[23:24], 4, v[8:9]
	v_lshl_add_u32 v9, v2, 4, 0
	s_delay_alu instid0(VALU_DEP_2) | instskip(SKIP_1) | instid1(VALU_DEP_3)
	v_add_co_u32 v23, s0, s4, v23
	s_wait_alu 0xf1ff
	v_add_co_ci_u32_e64 v24, s0, s5, v24, s0
	v_add_f64_e32 v[41:42], v[55:56], v[67:68]
	v_add_f64_e32 v[43:44], v[57:58], v[71:72]
	;; [unrolled: 1-line block ×4, first 2 shown]
	v_add_f64_e64 v[49:50], v[55:56], -v[67:68]
	v_add_f64_e64 v[51:52], v[57:58], -v[71:72]
	;; [unrolled: 1-line block ×4, first 2 shown]
	v_add_f64_e32 v[57:58], v[75:76], v[85:86]
	v_add_f64_e32 v[59:60], v[81:82], v[79:80]
	;; [unrolled: 1-line block ×4, first 2 shown]
	v_add_f64_e64 v[65:66], v[75:76], -v[85:86]
	v_add_f64_e64 v[67:68], v[81:82], -v[79:80]
	;; [unrolled: 1-line block ×4, first 2 shown]
	ds_store_b128 v29, v[14:17]
	ds_store_b128 v29, v[41:44] offset:3456
	ds_store_b128 v29, v[45:48] offset:6912
	;; [unrolled: 1-line block ×11, first 2 shown]
	global_wb scope:SCOPE_SE
	s_wait_dscnt 0x0
	s_barrier_signal -1
	s_barrier_wait -1
	global_inv scope:SCOPE_SE
	global_load_b128 v[33:36], v[23:24], off offset:20640
	v_lshlrev_b64_e32 v[13:14], 4, v[12:13]
	v_lshlrev_b64_e32 v[15:16], 4, v[0:1]
	;; [unrolled: 1-line block ×3, first 2 shown]
	s_delay_alu instid0(VALU_DEP_3) | instskip(SKIP_1) | instid1(VALU_DEP_4)
	v_add_co_u32 v21, s0, s4, v13
	s_wait_alu 0xf1ff
	v_add_co_ci_u32_e64 v22, s0, s5, v14, s0
	v_add_co_u32 v19, s0, s4, v6
	s_wait_alu 0xf1ff
	v_add_co_ci_u32_e64 v20, s0, s5, v7, s0
	;; [unrolled: 3-line block ×4, first 2 shown]
	v_add_co_u32 v13, s0, s4, v27
	s_clause 0x2
	global_load_b128 v[3:6], v[21:22], off offset:20640
	global_load_b128 v[37:40], v[19:20], off offset:20640
	;; [unrolled: 1-line block ×3, first 2 shown]
	s_wait_alu 0xf1ff
	v_add_co_ci_u32_e64 v14, s0, s5, v28, s0
	s_clause 0x1
	global_load_b128 v[45:48], v[15:16], off offset:20640
	global_load_b128 v[49:52], v[13:14], off offset:20640
	ds_load_b128 v[53:56], v29 offset:20736
	ds_load_b128 v[57:60], v29 offset:24192
	;; [unrolled: 1-line block ×6, first 2 shown]
	v_cmp_ne_u32_e64 s0, 0, v8
	s_wait_loadcnt_dscnt 0x505
	v_mul_f64_e32 v[27:28], v[55:56], v[35:36]
	v_mul_f64_e32 v[35:36], v[53:54], v[35:36]
	s_wait_loadcnt_dscnt 0x404
	v_mul_f64_e32 v[77:78], v[59:60], v[5:6]
	v_mul_f64_e32 v[5:6], v[57:58], v[5:6]
	;; [unrolled: 3-line block ×4, first 2 shown]
	s_wait_loadcnt_dscnt 0x101
	v_mul_f64_e32 v[83:84], v[71:72], v[47:48]
	v_fma_f64 v[27:28], v[53:54], v[33:34], v[27:28]
	v_fma_f64 v[85:86], v[55:56], v[33:34], -v[35:36]
	v_mul_f64_e32 v[33:34], v[69:70], v[47:48]
	s_wait_loadcnt_dscnt 0x0
	v_mul_f64_e32 v[35:36], v[75:76], v[51:52]
	v_mul_f64_e32 v[47:48], v[73:74], v[51:52]
	v_fma_f64 v[77:78], v[57:58], v[3:4], v[77:78]
	v_fma_f64 v[87:88], v[59:60], v[3:4], -v[5:6]
	v_fma_f64 v[79:80], v[61:62], v[37:38], v[79:80]
	v_fma_f64 v[89:90], v[63:64], v[37:38], -v[39:40]
	;; [unrolled: 2-line block ×3, first 2 shown]
	v_fma_f64 v[83:84], v[69:70], v[45:46], v[83:84]
	ds_load_b128 v[3:6], v29
	v_fma_f64 v[93:94], v[71:72], v[45:46], -v[33:34]
	v_fma_f64 v[95:96], v[73:74], v[49:50], v[35:36]
	v_fma_f64 v[97:98], v[75:76], v[49:50], -v[47:48]
	v_lshl_add_u32 v33, v0, 4, 0
	ds_load_b128 v[34:37], v26
	ds_load_b128 v[38:41], v32
	;; [unrolled: 1-line block ×5, first 2 shown]
	global_wb scope:SCOPE_SE
	s_wait_dscnt 0x0
	v_add_f64_e64 v[54:55], v[3:4], -v[27:28]
	v_add_f64_e64 v[56:57], v[5:6], -v[85:86]
	s_barrier_signal -1
	s_barrier_wait -1
	global_inv scope:SCOPE_SE
                                        ; implicit-def: $vgpr27_vgpr28
	v_add_f64_e64 v[58:59], v[34:35], -v[77:78]
	v_add_f64_e64 v[60:61], v[36:37], -v[87:88]
	;; [unrolled: 1-line block ×10, first 2 shown]
	v_fma_f64 v[0:1], v[3:4], 2.0, -v[54:55]
	v_fma_f64 v[2:3], v[5:6], 2.0, -v[56:57]
	;; [unrolled: 1-line block ×12, first 2 shown]
	ds_store_b128 v29, v[0:3]
	ds_store_b128 v29, v[54:57] offset:20736
	ds_store_b128 v26, v[4:7]
	ds_store_b128 v26, v[58:61] offset:20736
	;; [unrolled: 2-line block ×6, first 2 shown]
	global_wb scope:SCOPE_SE
	s_wait_dscnt 0x0
	s_barrier_signal -1
	s_barrier_wait -1
	global_inv scope:SCOPE_SE
	ds_load_b128 v[4:7], v29
	v_sub_nc_u32_e32 v34, 0, v25
                                        ; implicit-def: $vgpr0_vgpr1
                                        ; implicit-def: $vgpr25_vgpr26
	s_and_saveexec_b32 s1, s0
	s_wait_alu 0xfffe
	s_xor_b32 s0, exec_lo, s1
	s_cbranch_execz .LBB0_15
; %bb.14:
	global_load_b128 v[23:26], v[23:24], off offset:41376
	ds_load_b128 v[0:3], v34 offset:41472
	s_wait_dscnt 0x0
	v_add_f64_e64 v[27:28], v[4:5], -v[0:1]
	v_add_f64_e32 v[35:36], v[6:7], v[2:3]
	v_add_f64_e64 v[2:3], v[6:7], -v[2:3]
	v_add_f64_e32 v[0:1], v[4:5], v[0:1]
	s_delay_alu instid0(VALU_DEP_4) | instskip(NEXT) | instid1(VALU_DEP_4)
	v_mul_f64_e32 v[6:7], 0.5, v[27:28]
	v_mul_f64_e32 v[4:5], 0.5, v[35:36]
	s_delay_alu instid0(VALU_DEP_4) | instskip(SKIP_1) | instid1(VALU_DEP_3)
	v_mul_f64_e32 v[2:3], 0.5, v[2:3]
	s_wait_loadcnt 0x0
	v_mul_f64_e32 v[27:28], v[6:7], v[25:26]
	s_delay_alu instid0(VALU_DEP_2) | instskip(SKIP_1) | instid1(VALU_DEP_3)
	v_fma_f64 v[35:36], v[4:5], v[25:26], v[2:3]
	v_fma_f64 v[2:3], v[4:5], v[25:26], -v[2:3]
	v_fma_f64 v[37:38], v[0:1], 0.5, v[27:28]
	v_fma_f64 v[0:1], v[0:1], 0.5, -v[27:28]
	s_delay_alu instid0(VALU_DEP_4) | instskip(NEXT) | instid1(VALU_DEP_4)
	v_fma_f64 v[27:28], -v[23:24], v[6:7], v[35:36]
	v_fma_f64 v[2:3], -v[23:24], v[6:7], v[2:3]
	s_delay_alu instid0(VALU_DEP_4) | instskip(NEXT) | instid1(VALU_DEP_4)
	v_fma_f64 v[25:26], v[4:5], v[23:24], v[37:38]
	v_fma_f64 v[0:1], -v[4:5], v[23:24], v[0:1]
                                        ; implicit-def: $vgpr4_vgpr5
.LBB0_15:
	s_wait_alu 0xfffe
	s_or_saveexec_b32 s0, s0
	v_mul_i32_i24_e32 v12, 0xffffffb0, v12
	s_wait_alu 0xfffe
	s_xor_b32 exec_lo, exec_lo, s0
	s_cbranch_execz .LBB0_17
; %bb.16:
	s_wait_dscnt 0x0
	v_add_f64_e32 v[25:26], v[4:5], v[6:7]
	v_add_f64_e64 v[0:1], v[4:5], -v[6:7]
	v_dual_mov_b32 v6, 0 :: v_dual_mov_b32 v27, 0
	v_mov_b32_e32 v28, 0
	s_delay_alu instid0(VALU_DEP_2)
	v_mov_b32_e32 v2, v27
	ds_load_b64 v[4:5], v6 offset:20744
	v_mov_b32_e32 v3, v28
	s_wait_dscnt 0x0
	v_xor_b32_e32 v5, 0x80000000, v5
	ds_store_b64 v6, v[4:5] offset:20744
.LBB0_17:
	s_or_b32 exec_lo, exec_lo, s0
	s_wait_dscnt 0x0
	s_clause 0x1
	global_load_b128 v[4:7], v[21:22], off offset:41376
	global_load_b128 v[19:22], v[19:20], off offset:41376
	v_add_nc_u32_e32 v12, v31, v12
	ds_store_2addr_b64 v29, v[25:26], v[27:28] offset1:1
	ds_store_b128 v34, v[0:3] offset:41472
	ds_load_b128 v[0:3], v12
	ds_load_b128 v[23:26], v34 offset:38016
	s_wait_dscnt 0x0
	v_add_f64_e64 v[27:28], v[0:1], -v[23:24]
	v_add_f64_e32 v[35:36], v[2:3], v[25:26]
	v_add_f64_e64 v[2:3], v[2:3], -v[25:26]
	v_add_f64_e32 v[0:1], v[0:1], v[23:24]
	s_delay_alu instid0(VALU_DEP_4) | instskip(NEXT) | instid1(VALU_DEP_4)
	v_mul_f64_e32 v[25:26], 0.5, v[27:28]
	v_mul_f64_e32 v[27:28], 0.5, v[35:36]
	s_delay_alu instid0(VALU_DEP_4) | instskip(SKIP_1) | instid1(VALU_DEP_3)
	v_mul_f64_e32 v[2:3], 0.5, v[2:3]
	s_wait_loadcnt 0x1
	v_mul_f64_e32 v[23:24], v[25:26], v[6:7]
	s_delay_alu instid0(VALU_DEP_2) | instskip(SKIP_1) | instid1(VALU_DEP_3)
	v_fma_f64 v[35:36], v[27:28], v[6:7], v[2:3]
	v_fma_f64 v[2:3], v[27:28], v[6:7], -v[2:3]
	v_fma_f64 v[6:7], v[0:1], 0.5, v[23:24]
	v_fma_f64 v[0:1], v[0:1], 0.5, -v[23:24]
	s_delay_alu instid0(VALU_DEP_4) | instskip(NEXT) | instid1(VALU_DEP_4)
	v_fma_f64 v[23:24], -v[4:5], v[25:26], v[35:36]
	v_fma_f64 v[25:26], -v[4:5], v[25:26], v[2:3]
	s_delay_alu instid0(VALU_DEP_4) | instskip(NEXT) | instid1(VALU_DEP_4)
	v_fma_f64 v[6:7], v[27:28], v[4:5], v[6:7]
	v_fma_f64 v[4:5], -v[27:28], v[4:5], v[0:1]
	global_load_b128 v[0:3], v[17:18], off offset:41376
	ds_store_b64 v12, v[23:24] offset:8
	ds_store_b64 v34, v[25:26] offset:38024
	ds_store_b64 v12, v[6:7]
	ds_store_b64 v34, v[4:5] offset:38016
	ds_load_b128 v[4:7], v32
	ds_load_b128 v[23:26], v34 offset:34560
	s_wait_dscnt 0x0
	v_add_f64_e64 v[17:18], v[4:5], -v[23:24]
	v_add_f64_e32 v[27:28], v[6:7], v[25:26]
	v_add_f64_e64 v[6:7], v[6:7], -v[25:26]
	v_add_f64_e32 v[4:5], v[4:5], v[23:24]
	s_delay_alu instid0(VALU_DEP_4) | instskip(NEXT) | instid1(VALU_DEP_4)
	v_mul_f64_e32 v[17:18], 0.5, v[17:18]
	v_mul_f64_e32 v[25:26], 0.5, v[27:28]
	s_delay_alu instid0(VALU_DEP_4) | instskip(SKIP_1) | instid1(VALU_DEP_3)
	v_mul_f64_e32 v[6:7], 0.5, v[6:7]
	s_wait_loadcnt 0x1
	v_mul_f64_e32 v[23:24], v[17:18], v[21:22]
	s_delay_alu instid0(VALU_DEP_2) | instskip(SKIP_1) | instid1(VALU_DEP_3)
	v_fma_f64 v[27:28], v[25:26], v[21:22], v[6:7]
	v_fma_f64 v[6:7], v[25:26], v[21:22], -v[6:7]
	v_fma_f64 v[21:22], v[4:5], 0.5, v[23:24]
	v_fma_f64 v[4:5], v[4:5], 0.5, -v[23:24]
	s_delay_alu instid0(VALU_DEP_4) | instskip(NEXT) | instid1(VALU_DEP_4)
	v_fma_f64 v[23:24], -v[19:20], v[17:18], v[27:28]
	v_fma_f64 v[6:7], -v[19:20], v[17:18], v[6:7]
	global_load_b128 v[15:18], v[15:16], off offset:41376
	v_fma_f64 v[21:22], v[25:26], v[19:20], v[21:22]
	v_fma_f64 v[4:5], -v[25:26], v[19:20], v[4:5]
	ds_store_2addr_b64 v32, v[21:22], v[23:24] offset1:1
	ds_store_b128 v34, v[4:7] offset:34560
	ds_load_b128 v[4:7], v33
	ds_load_b128 v[19:22], v34 offset:31104
	s_wait_dscnt 0x0
	v_add_f64_e64 v[23:24], v[4:5], -v[19:20]
	v_add_f64_e32 v[25:26], v[6:7], v[21:22]
	v_add_f64_e64 v[6:7], v[6:7], -v[21:22]
	v_add_f64_e32 v[4:5], v[4:5], v[19:20]
	s_delay_alu instid0(VALU_DEP_4) | instskip(NEXT) | instid1(VALU_DEP_4)
	v_mul_f64_e32 v[21:22], 0.5, v[23:24]
	v_mul_f64_e32 v[23:24], 0.5, v[25:26]
	s_delay_alu instid0(VALU_DEP_4) | instskip(SKIP_1) | instid1(VALU_DEP_3)
	v_mul_f64_e32 v[6:7], 0.5, v[6:7]
	s_wait_loadcnt 0x1
	v_mul_f64_e32 v[19:20], v[21:22], v[2:3]
	s_delay_alu instid0(VALU_DEP_2) | instskip(SKIP_1) | instid1(VALU_DEP_3)
	v_fma_f64 v[25:26], v[23:24], v[2:3], v[6:7]
	v_fma_f64 v[2:3], v[23:24], v[2:3], -v[6:7]
	v_fma_f64 v[6:7], v[4:5], 0.5, v[19:20]
	v_fma_f64 v[4:5], v[4:5], 0.5, -v[19:20]
	s_delay_alu instid0(VALU_DEP_4) | instskip(NEXT) | instid1(VALU_DEP_4)
	v_fma_f64 v[19:20], -v[0:1], v[21:22], v[25:26]
	v_fma_f64 v[2:3], -v[0:1], v[21:22], v[2:3]
	s_delay_alu instid0(VALU_DEP_4) | instskip(NEXT) | instid1(VALU_DEP_4)
	v_fma_f64 v[21:22], v[23:24], v[0:1], v[6:7]
	v_fma_f64 v[0:1], -v[23:24], v[0:1], v[4:5]
	global_load_b128 v[4:7], v[13:14], off offset:41376
	ds_store_2addr_b64 v33, v[21:22], v[19:20] offset1:1
	ds_store_b128 v34, v[0:3] offset:31104
	ds_load_b128 v[0:3], v30
	ds_load_b128 v[19:22], v34 offset:27648
	s_wait_dscnt 0x0
	v_add_f64_e64 v[12:13], v[0:1], -v[19:20]
	v_add_f64_e32 v[23:24], v[2:3], v[21:22]
	v_add_f64_e64 v[2:3], v[2:3], -v[21:22]
	v_add_f64_e32 v[0:1], v[0:1], v[19:20]
	s_delay_alu instid0(VALU_DEP_4) | instskip(NEXT) | instid1(VALU_DEP_4)
	v_mul_f64_e32 v[12:13], 0.5, v[12:13]
	v_mul_f64_e32 v[21:22], 0.5, v[23:24]
	s_delay_alu instid0(VALU_DEP_4) | instskip(SKIP_1) | instid1(VALU_DEP_3)
	v_mul_f64_e32 v[2:3], 0.5, v[2:3]
	s_wait_loadcnt 0x1
	v_mul_f64_e32 v[19:20], v[12:13], v[17:18]
	s_delay_alu instid0(VALU_DEP_2) | instskip(SKIP_1) | instid1(VALU_DEP_3)
	v_fma_f64 v[23:24], v[21:22], v[17:18], v[2:3]
	v_fma_f64 v[2:3], v[21:22], v[17:18], -v[2:3]
	v_fma_f64 v[17:18], v[0:1], 0.5, v[19:20]
	v_fma_f64 v[0:1], v[0:1], 0.5, -v[19:20]
	s_delay_alu instid0(VALU_DEP_4) | instskip(NEXT) | instid1(VALU_DEP_4)
	v_fma_f64 v[19:20], -v[15:16], v[12:13], v[23:24]
	v_fma_f64 v[2:3], -v[15:16], v[12:13], v[2:3]
	s_delay_alu instid0(VALU_DEP_4) | instskip(NEXT) | instid1(VALU_DEP_4)
	v_fma_f64 v[12:13], v[21:22], v[15:16], v[17:18]
	v_fma_f64 v[0:1], -v[21:22], v[15:16], v[0:1]
	ds_store_2addr_b64 v30, v[12:13], v[19:20] offset1:1
	ds_store_b128 v34, v[0:3] offset:27648
	ds_load_b128 v[0:3], v9
	ds_load_b128 v[12:15], v34 offset:24192
	s_wait_dscnt 0x0
	v_add_f64_e64 v[16:17], v[0:1], -v[12:13]
	v_add_f64_e32 v[18:19], v[2:3], v[14:15]
	v_add_f64_e64 v[2:3], v[2:3], -v[14:15]
	v_add_f64_e32 v[0:1], v[0:1], v[12:13]
	s_delay_alu instid0(VALU_DEP_4) | instskip(NEXT) | instid1(VALU_DEP_4)
	v_mul_f64_e32 v[14:15], 0.5, v[16:17]
	v_mul_f64_e32 v[16:17], 0.5, v[18:19]
	s_delay_alu instid0(VALU_DEP_4) | instskip(SKIP_1) | instid1(VALU_DEP_3)
	v_mul_f64_e32 v[2:3], 0.5, v[2:3]
	s_wait_loadcnt 0x0
	v_mul_f64_e32 v[12:13], v[14:15], v[6:7]
	s_delay_alu instid0(VALU_DEP_2) | instskip(SKIP_1) | instid1(VALU_DEP_3)
	v_fma_f64 v[18:19], v[16:17], v[6:7], v[2:3]
	v_fma_f64 v[2:3], v[16:17], v[6:7], -v[2:3]
	v_fma_f64 v[6:7], v[0:1], 0.5, v[12:13]
	v_fma_f64 v[0:1], v[0:1], 0.5, -v[12:13]
	s_delay_alu instid0(VALU_DEP_4) | instskip(NEXT) | instid1(VALU_DEP_4)
	v_fma_f64 v[12:13], -v[4:5], v[14:15], v[18:19]
	v_fma_f64 v[2:3], -v[4:5], v[14:15], v[2:3]
	s_delay_alu instid0(VALU_DEP_4) | instskip(NEXT) | instid1(VALU_DEP_4)
	v_fma_f64 v[6:7], v[16:17], v[4:5], v[6:7]
	v_fma_f64 v[0:1], -v[16:17], v[4:5], v[0:1]
	ds_store_2addr_b64 v9, v[6:7], v[12:13] offset1:1
	ds_store_b128 v34, v[0:3] offset:24192
	global_wb scope:SCOPE_SE
	s_wait_dscnt 0x0
	s_barrier_signal -1
	s_barrier_wait -1
	global_inv scope:SCOPE_SE
	s_and_saveexec_b32 s0, vcc_lo
	s_cbranch_execz .LBB0_20
; %bb.18:
	v_add_co_u32 v0, vcc_lo, s8, v10
	s_wait_alu 0xfffd
	v_add_co_ci_u32_e32 v1, vcc_lo, s9, v11, vcc_lo
	ds_load_b128 v[2:5], v29
	ds_load_b128 v[10:13], v29 offset:3456
	ds_load_b128 v[14:17], v29 offset:6912
	;; [unrolled: 1-line block ×11, first 2 shown]
	v_mov_b32_e32 v9, 0
	s_delay_alu instid0(VALU_DEP_1) | instskip(NEXT) | instid1(VALU_DEP_1)
	v_lshlrev_b64_e32 v[6:7], 4, v[8:9]
	v_add_co_u32 v6, vcc_lo, v0, v6
	s_wait_alu 0xfffd
	s_delay_alu instid0(VALU_DEP_2)
	v_add_co_ci_u32_e32 v7, vcc_lo, v1, v7, vcc_lo
	v_cmp_eq_u32_e32 vcc_lo, 0xd7, v8
	s_wait_dscnt 0xb
	global_store_b128 v[6:7], v[2:5], off
	s_wait_dscnt 0xa
	global_store_b128 v[6:7], v[10:13], off offset:3456
	s_wait_dscnt 0x9
	global_store_b128 v[6:7], v[14:17], off offset:6912
	;; [unrolled: 2-line block ×11, first 2 shown]
	s_and_b32 exec_lo, exec_lo, vcc_lo
	s_cbranch_execz .LBB0_20
; %bb.19:
	ds_load_b128 v[2:5], v9 offset:41472
	s_wait_dscnt 0x0
	global_store_b128 v[0:1], v[2:5], off offset:41472
.LBB0_20:
	s_nop 0
	s_sendmsg sendmsg(MSG_DEALLOC_VGPRS)
	s_endpgm
	.section	.rodata,"a",@progbits
	.p2align	6, 0x0
	.amdhsa_kernel fft_rtc_back_len2592_factors_6_6_6_6_2_wgs_216_tpt_216_halfLds_dp_ip_CI_unitstride_sbrr_R2C_dirReg
		.amdhsa_group_segment_fixed_size 0
		.amdhsa_private_segment_fixed_size 0
		.amdhsa_kernarg_size 88
		.amdhsa_user_sgpr_count 2
		.amdhsa_user_sgpr_dispatch_ptr 0
		.amdhsa_user_sgpr_queue_ptr 0
		.amdhsa_user_sgpr_kernarg_segment_ptr 1
		.amdhsa_user_sgpr_dispatch_id 0
		.amdhsa_user_sgpr_private_segment_size 0
		.amdhsa_wavefront_size32 1
		.amdhsa_uses_dynamic_stack 0
		.amdhsa_enable_private_segment 0
		.amdhsa_system_sgpr_workgroup_id_x 1
		.amdhsa_system_sgpr_workgroup_id_y 0
		.amdhsa_system_sgpr_workgroup_id_z 0
		.amdhsa_system_sgpr_workgroup_info 0
		.amdhsa_system_vgpr_workitem_id 0
		.amdhsa_next_free_vgpr 102
		.amdhsa_next_free_sgpr 32
		.amdhsa_reserve_vcc 1
		.amdhsa_float_round_mode_32 0
		.amdhsa_float_round_mode_16_64 0
		.amdhsa_float_denorm_mode_32 3
		.amdhsa_float_denorm_mode_16_64 3
		.amdhsa_fp16_overflow 0
		.amdhsa_workgroup_processor_mode 1
		.amdhsa_memory_ordered 1
		.amdhsa_forward_progress 0
		.amdhsa_round_robin_scheduling 0
		.amdhsa_exception_fp_ieee_invalid_op 0
		.amdhsa_exception_fp_denorm_src 0
		.amdhsa_exception_fp_ieee_div_zero 0
		.amdhsa_exception_fp_ieee_overflow 0
		.amdhsa_exception_fp_ieee_underflow 0
		.amdhsa_exception_fp_ieee_inexact 0
		.amdhsa_exception_int_div_zero 0
	.end_amdhsa_kernel
	.text
.Lfunc_end0:
	.size	fft_rtc_back_len2592_factors_6_6_6_6_2_wgs_216_tpt_216_halfLds_dp_ip_CI_unitstride_sbrr_R2C_dirReg, .Lfunc_end0-fft_rtc_back_len2592_factors_6_6_6_6_2_wgs_216_tpt_216_halfLds_dp_ip_CI_unitstride_sbrr_R2C_dirReg
                                        ; -- End function
	.section	.AMDGPU.csdata,"",@progbits
; Kernel info:
; codeLenInByte = 9428
; NumSgprs: 34
; NumVgprs: 102
; ScratchSize: 0
; MemoryBound: 0
; FloatMode: 240
; IeeeMode: 1
; LDSByteSize: 0 bytes/workgroup (compile time only)
; SGPRBlocks: 4
; VGPRBlocks: 12
; NumSGPRsForWavesPerEU: 34
; NumVGPRsForWavesPerEU: 102
; Occupancy: 12
; WaveLimiterHint : 1
; COMPUTE_PGM_RSRC2:SCRATCH_EN: 0
; COMPUTE_PGM_RSRC2:USER_SGPR: 2
; COMPUTE_PGM_RSRC2:TRAP_HANDLER: 0
; COMPUTE_PGM_RSRC2:TGID_X_EN: 1
; COMPUTE_PGM_RSRC2:TGID_Y_EN: 0
; COMPUTE_PGM_RSRC2:TGID_Z_EN: 0
; COMPUTE_PGM_RSRC2:TIDIG_COMP_CNT: 0
	.text
	.p2alignl 7, 3214868480
	.fill 96, 4, 3214868480
	.type	__hip_cuid_27457a203c27811d,@object ; @__hip_cuid_27457a203c27811d
	.section	.bss,"aw",@nobits
	.globl	__hip_cuid_27457a203c27811d
__hip_cuid_27457a203c27811d:
	.byte	0                               ; 0x0
	.size	__hip_cuid_27457a203c27811d, 1

	.ident	"AMD clang version 19.0.0git (https://github.com/RadeonOpenCompute/llvm-project roc-6.4.0 25133 c7fe45cf4b819c5991fe208aaa96edf142730f1d)"
	.section	".note.GNU-stack","",@progbits
	.addrsig
	.addrsig_sym __hip_cuid_27457a203c27811d
	.amdgpu_metadata
---
amdhsa.kernels:
  - .args:
      - .actual_access:  read_only
        .address_space:  global
        .offset:         0
        .size:           8
        .value_kind:     global_buffer
      - .offset:         8
        .size:           8
        .value_kind:     by_value
      - .actual_access:  read_only
        .address_space:  global
        .offset:         16
        .size:           8
        .value_kind:     global_buffer
      - .actual_access:  read_only
        .address_space:  global
        .offset:         24
        .size:           8
        .value_kind:     global_buffer
      - .offset:         32
        .size:           8
        .value_kind:     by_value
      - .actual_access:  read_only
        .address_space:  global
        .offset:         40
        .size:           8
        .value_kind:     global_buffer
      - .actual_access:  read_only
        .address_space:  global
        .offset:         48
        .size:           8
        .value_kind:     global_buffer
      - .offset:         56
        .size:           4
        .value_kind:     by_value
      - .actual_access:  read_only
        .address_space:  global
        .offset:         64
        .size:           8
        .value_kind:     global_buffer
      - .actual_access:  read_only
        .address_space:  global
        .offset:         72
        .size:           8
        .value_kind:     global_buffer
      - .address_space:  global
        .offset:         80
        .size:           8
        .value_kind:     global_buffer
    .group_segment_fixed_size: 0
    .kernarg_segment_align: 8
    .kernarg_segment_size: 88
    .language:       OpenCL C
    .language_version:
      - 2
      - 0
    .max_flat_workgroup_size: 216
    .name:           fft_rtc_back_len2592_factors_6_6_6_6_2_wgs_216_tpt_216_halfLds_dp_ip_CI_unitstride_sbrr_R2C_dirReg
    .private_segment_fixed_size: 0
    .sgpr_count:     34
    .sgpr_spill_count: 0
    .symbol:         fft_rtc_back_len2592_factors_6_6_6_6_2_wgs_216_tpt_216_halfLds_dp_ip_CI_unitstride_sbrr_R2C_dirReg.kd
    .uniform_work_group_size: 1
    .uses_dynamic_stack: false
    .vgpr_count:     102
    .vgpr_spill_count: 0
    .wavefront_size: 32
    .workgroup_processor_mode: 1
amdhsa.target:   amdgcn-amd-amdhsa--gfx1201
amdhsa.version:
  - 1
  - 2
...

	.end_amdgpu_metadata
